;; amdgpu-corpus repo=ROCm/rocPRIM kind=compiled arch=gfx1201 opt=O3
	.amdgcn_target "amdgcn-amd-amdhsa--gfx1201"
	.amdhsa_code_object_version 6
	.text
	.protected	_Z11test_globalPoPbPKjm ; -- Begin function _Z11test_globalPoPbPKjm
	.globl	_Z11test_globalPoPbPKjm
	.p2align	8
	.type	_Z11test_globalPoPbPKjm,@function
_Z11test_globalPoPbPKjm:                ; @_Z11test_globalPoPbPKjm
; %bb.0:
	s_load_b256 s[4:11], s[0:1], 0x0
	s_add_nc_u64 s[0:1], s[0:1], 32
	v_mov_b32_e32 v8, 0
	s_wait_kmcnt 0x0
	v_cvt_f32_u32_e32 v1, s10
	v_mov_b32_e32 v6, s5
	s_sub_co_i32 s2, 0, s10
	v_mov_b32_e32 v5, s4
	s_delay_alu instid0(VALU_DEP_3) | instskip(NEXT) | instid1(TRANS32_DEP_1)
	v_rcp_iflag_f32_e32 v1, v1
	v_mul_f32_e32 v1, 0x4f7ffffe, v1
	s_delay_alu instid0(VALU_DEP_1) | instskip(NEXT) | instid1(VALU_DEP_1)
	v_cvt_u32_f32_e32 v1, v1
	v_mul_lo_u32 v2, s2, v1
	s_mov_b32 s2, 0
	s_delay_alu instid0(VALU_DEP_1) | instskip(NEXT) | instid1(VALU_DEP_1)
	v_mul_hi_u32 v2, v1, v2
	v_dual_mov_b32 v9, 1 :: v_dual_add_nc_u32 v10, v1, v2
	s_branch .LBB0_2
.LBB0_1:                                ;   in Loop: Header=BB0_2 Depth=1
	s_wait_alu 0xfffe
	s_or_b32 exec_lo, exec_lo, s3
	s_delay_alu instid0(VALU_DEP_1)
	v_lshl_add_u32 v7, v1, 1, v1
	v_mov_b32_e32 v3, v8
	s_add_co_i32 s2, s2, 1
	s_wait_alu 0xfffe
	s_cmp_lg_u32 s2, 0x3e8
	v_add_nc_u32_e32 v2, 1, v7
	v_lshlrev_b64_e32 v[11:12], 2, v[7:8]
	v_add_nc_u32_e32 v7, 2, v7
	s_delay_alu instid0(VALU_DEP_3) | instskip(NEXT) | instid1(VALU_DEP_2)
	v_lshlrev_b64_e32 v[2:3], 2, v[2:3]
	v_lshlrev_b64_e32 v[13:14], 2, v[7:8]
	s_delay_alu instid0(VALU_DEP_4) | instskip(SKIP_2) | instid1(VALU_DEP_4)
	v_add_co_u32 v11, vcc_lo, s8, v11
	s_wait_alu 0xfffd
	v_add_co_ci_u32_e64 v12, null, s9, v12, vcc_lo
	v_add_co_u32 v2, vcc_lo, s8, v2
	s_wait_alu 0xfffd
	v_add_co_ci_u32_e64 v3, null, s9, v3, vcc_lo
	;; [unrolled: 3-line block ×3, first 2 shown]
	s_clause 0x2
	global_load_b32 v13, v[11:12], off
	global_load_b32 v12, v[2:3], off
	global_load_b32 v11, v[15:16], off
	v_mov_b32_e32 v14, v1
	s_wait_loadcnt 0x0
	;;#ASMSTART
	global_store_b128 v[5:6], v[11:14] off scope:SCOPE_DEV	
s_wait_storecnt 0x0
	;;#ASMEND
	s_cbranch_scc0 .LBB0_10
.LBB0_2:                                ; =>This Inner Loop Header: Depth=1
	;;#ASMSTART
	global_load_b128 v[1:4], v[5:6] off scope:SCOPE_DEV	
s_wait_loadcnt 0x0
	;;#ASMEND
	v_lshl_add_u32 v7, v4, 1, v4
	s_mov_b32 s4, exec_lo
	s_delay_alu instid0(VALU_DEP_1) | instskip(NEXT) | instid1(VALU_DEP_1)
	v_lshlrev_b64_e32 v[11:12], 2, v[7:8]
	v_add_co_u32 v11, vcc_lo, s8, v11
	s_wait_alu 0xfffd
	s_delay_alu instid0(VALU_DEP_2)
	v_add_co_ci_u32_e64 v12, null, s9, v12, vcc_lo
	global_load_b32 v4, v[11:12], off
	s_wait_loadcnt 0x0
	v_cmp_ne_u32_e64 s3, v4, v3
	v_cmpx_eq_u32_e64 v4, v3
	s_cbranch_execz .LBB0_6
; %bb.3:                                ;   in Loop: Header=BB0_2 Depth=1
	v_dual_mov_b32 v4, v8 :: v_dual_add_nc_u32 v3, 1, v7
	s_mov_b32 s12, exec_lo
	s_delay_alu instid0(VALU_DEP_1) | instskip(NEXT) | instid1(VALU_DEP_1)
	v_lshlrev_b64_e32 v[3:4], 2, v[3:4]
	v_add_co_u32 v3, vcc_lo, s8, v3
	s_wait_alu 0xfffd
	s_delay_alu instid0(VALU_DEP_2)
	v_add_co_ci_u32_e64 v4, null, s9, v4, vcc_lo
	global_load_b32 v3, v[3:4], off
	s_wait_loadcnt 0x0
	v_cmp_ne_u32_e64 s5, v3, v2
	v_cmpx_eq_u32_e64 v3, v2
	s_cbranch_execz .LBB0_5
; %bb.4:                                ;   in Loop: Header=BB0_2 Depth=1
	v_add_nc_u32_e32 v7, 2, v7
	s_and_not1_b32 s5, s5, exec_lo
	s_delay_alu instid0(VALU_DEP_1) | instskip(NEXT) | instid1(VALU_DEP_1)
	v_lshlrev_b64_e32 v[2:3], 2, v[7:8]
	v_add_co_u32 v2, vcc_lo, s8, v2
	s_wait_alu 0xfffd
	s_delay_alu instid0(VALU_DEP_2)
	v_add_co_ci_u32_e64 v3, null, s9, v3, vcc_lo
	global_load_b32 v2, v[2:3], off
	s_wait_loadcnt 0x0
	v_cmp_ne_u32_e32 vcc_lo, v2, v1
	s_and_b32 s13, vcc_lo, exec_lo
	s_wait_alu 0xfffe
	s_or_b32 s5, s5, s13
.LBB0_5:                                ;   in Loop: Header=BB0_2 Depth=1
	s_or_b32 exec_lo, exec_lo, s12
	s_delay_alu instid0(SALU_CYCLE_1)
	s_and_not1_b32 s3, s3, exec_lo
	s_wait_alu 0xfffe
	s_and_b32 s5, s5, exec_lo
	s_wait_alu 0xfffe
	s_or_b32 s3, s3, s5
.LBB0_6:                                ;   in Loop: Header=BB0_2 Depth=1
	s_wait_alu 0xfffe
	s_or_b32 exec_lo, exec_lo, s4
	s_and_saveexec_b32 s4, s3
	s_cbranch_execz .LBB0_8
; %bb.7:                                ;   in Loop: Header=BB0_2 Depth=1
	global_store_b8 v8, v9, s[6:7]
.LBB0_8:                                ;   in Loop: Header=BB0_2 Depth=1
	s_wait_alu 0xfffe
	s_or_b32 exec_lo, exec_lo, s4
	s_sleep 63
	s_load_b32 s3, s[0:1], 0xc
	s_wait_kmcnt 0x0
	s_and_b32 s3, s3, 0xffff
	s_wait_alu 0xfffe
	s_mul_i32 s3, ttmp9, s3
	s_wait_alu 0xfffe
	v_add3_u32 v7, s3, s2, v0
	s_mov_b32 s3, exec_lo
	s_delay_alu instid0(VALU_DEP_1)
	v_dual_mov_b32 v1, v7 :: v_dual_mov_b32 v2, v8
	v_cmpx_le_u64_e64 s[10:11], v[7:8]
	s_cbranch_execz .LBB0_1
; %bb.9:                                ;   in Loop: Header=BB0_2 Depth=1
	v_mul_hi_u32 v1, v7, v10
	s_delay_alu instid0(VALU_DEP_1) | instskip(NEXT) | instid1(VALU_DEP_1)
	v_mul_lo_u32 v1, v1, s10
	v_sub_nc_u32_e32 v1, v7, v1
	s_delay_alu instid0(VALU_DEP_1) | instskip(SKIP_2) | instid1(VALU_DEP_2)
	v_subrev_nc_u32_e32 v2, s10, v1
	v_cmp_le_u32_e32 vcc_lo, s10, v1
	s_wait_alu 0xfffd
	v_cndmask_b32_e32 v1, v1, v2, vcc_lo
	s_delay_alu instid0(VALU_DEP_1) | instskip(SKIP_2) | instid1(VALU_DEP_2)
	v_subrev_nc_u32_e32 v2, s10, v1
	v_cmp_le_u32_e32 vcc_lo, s10, v1
	s_wait_alu 0xfffd
	v_cndmask_b32_e32 v1, v1, v2, vcc_lo
	s_branch .LBB0_1
.LBB0_10:
	s_endpgm
	.section	.rodata,"a",@progbits
	.p2align	6, 0x0
	.amdhsa_kernel _Z11test_globalPoPbPKjm
		.amdhsa_group_segment_fixed_size 0
		.amdhsa_private_segment_fixed_size 0
		.amdhsa_kernarg_size 288
		.amdhsa_user_sgpr_count 2
		.amdhsa_user_sgpr_dispatch_ptr 0
		.amdhsa_user_sgpr_queue_ptr 0
		.amdhsa_user_sgpr_kernarg_segment_ptr 1
		.amdhsa_user_sgpr_dispatch_id 0
		.amdhsa_user_sgpr_private_segment_size 0
		.amdhsa_wavefront_size32 1
		.amdhsa_uses_dynamic_stack 0
		.amdhsa_enable_private_segment 0
		.amdhsa_system_sgpr_workgroup_id_x 1
		.amdhsa_system_sgpr_workgroup_id_y 0
		.amdhsa_system_sgpr_workgroup_id_z 0
		.amdhsa_system_sgpr_workgroup_info 0
		.amdhsa_system_vgpr_workitem_id 0
		.amdhsa_next_free_vgpr 17
		.amdhsa_next_free_sgpr 14
		.amdhsa_reserve_vcc 1
		.amdhsa_float_round_mode_32 0
		.amdhsa_float_round_mode_16_64 0
		.amdhsa_float_denorm_mode_32 3
		.amdhsa_float_denorm_mode_16_64 3
		.amdhsa_fp16_overflow 0
		.amdhsa_workgroup_processor_mode 1
		.amdhsa_memory_ordered 1
		.amdhsa_forward_progress 1
		.amdhsa_inst_pref_size 6
		.amdhsa_round_robin_scheduling 0
		.amdhsa_exception_fp_ieee_invalid_op 0
		.amdhsa_exception_fp_denorm_src 0
		.amdhsa_exception_fp_ieee_div_zero 0
		.amdhsa_exception_fp_ieee_overflow 0
		.amdhsa_exception_fp_ieee_underflow 0
		.amdhsa_exception_fp_ieee_inexact 0
		.amdhsa_exception_int_div_zero 0
	.end_amdhsa_kernel
	.text
.Lfunc_end0:
	.size	_Z11test_globalPoPbPKjm, .Lfunc_end0-_Z11test_globalPoPbPKjm
                                        ; -- End function
	.set _Z11test_globalPoPbPKjm.num_vgpr, 17
	.set _Z11test_globalPoPbPKjm.num_agpr, 0
	.set _Z11test_globalPoPbPKjm.numbered_sgpr, 14
	.set _Z11test_globalPoPbPKjm.num_named_barrier, 0
	.set _Z11test_globalPoPbPKjm.private_seg_size, 0
	.set _Z11test_globalPoPbPKjm.uses_vcc, 1
	.set _Z11test_globalPoPbPKjm.uses_flat_scratch, 0
	.set _Z11test_globalPoPbPKjm.has_dyn_sized_stack, 0
	.set _Z11test_globalPoPbPKjm.has_recursion, 0
	.set _Z11test_globalPoPbPKjm.has_indirect_call, 0
	.section	.AMDGPU.csdata,"",@progbits
; Kernel info:
; codeLenInByte = 716
; TotalNumSgprs: 16
; NumVgprs: 17
; ScratchSize: 0
; MemoryBound: 0
; FloatMode: 240
; IeeeMode: 1
; LDSByteSize: 0 bytes/workgroup (compile time only)
; SGPRBlocks: 0
; VGPRBlocks: 2
; NumSGPRsForWavesPerEU: 16
; NumVGPRsForWavesPerEU: 17
; Occupancy: 16
; WaveLimiterHint : 0
; COMPUTE_PGM_RSRC2:SCRATCH_EN: 0
; COMPUTE_PGM_RSRC2:USER_SGPR: 2
; COMPUTE_PGM_RSRC2:TRAP_HANDLER: 0
; COMPUTE_PGM_RSRC2:TGID_X_EN: 1
; COMPUTE_PGM_RSRC2:TGID_Y_EN: 0
; COMPUTE_PGM_RSRC2:TGID_Z_EN: 0
; COMPUTE_PGM_RSRC2:TIDIG_COMP_CNT: 0
	.text
	.protected	_Z11test_sharedPbPKjm   ; -- Begin function _Z11test_sharedPbPKjm
	.globl	_Z11test_sharedPbPKjm
	.p2align	8
	.type	_Z11test_sharedPbPKjm,@function
_Z11test_sharedPbPKjm:                  ; @_Z11test_sharedPbPKjm
; %bb.0:
	s_mov_b32 s8, 0
	s_mov_b32 s2, exec_lo
	v_cmpx_eq_u32_e32 0, v0
	s_cbranch_execz .LBB1_2
; %bb.1:
	v_mov_b32_e32 v1, 0
	s_delay_alu instid0(VALU_DEP_1)
	v_dual_mov_b32 v2, v1 :: v_dual_mov_b32 v3, v1
	v_mov_b32_e32 v4, v1
	ds_store_b128 v1, v[1:4]
.LBB1_2:
	s_or_b32 exec_lo, exec_lo, s2
	s_load_b64 s[2:3], s[0:1], 0x10
	v_mov_b32_e32 v5, 0
	s_wait_dscnt 0x0
	s_barrier_signal -1
	s_barrier_wait -1
	global_inv scope:SCOPE_SE
	v_mov_b32_e32 v6, 1
	s_wait_kmcnt 0x0
	v_cvt_f32_u32_e32 v1, s2
	s_sub_co_i32 s4, 0, s2
	s_delay_alu instid0(VALU_DEP_1) | instskip(NEXT) | instid1(TRANS32_DEP_1)
	v_rcp_iflag_f32_e32 v1, v1
	v_mul_f32_e32 v1, 0x4f7ffffe, v1
	s_delay_alu instid0(VALU_DEP_1) | instskip(NEXT) | instid1(VALU_DEP_1)
	v_cvt_u32_f32_e32 v1, v1
	v_mul_lo_u32 v2, s4, v1
	s_load_b128 s[4:7], s[0:1], 0x0
	s_add_nc_u64 s[0:1], s[0:1], 24
	s_delay_alu instid0(VALU_DEP_1) | instskip(NEXT) | instid1(VALU_DEP_1)
	v_mul_hi_u32 v2, v1, v2
	v_add_nc_u32_e32 v7, v1, v2
	s_branch .LBB1_4
.LBB1_3:                                ;   in Loop: Header=BB1_4 Depth=1
	s_wait_alu 0xfffe
	s_or_b32 exec_lo, exec_lo, s9
	s_delay_alu instid0(VALU_DEP_1)
	v_lshl_add_u32 v4, v1, 1, v1
	v_mov_b32_e32 v3, v5
	s_add_co_i32 s8, s8, 1
	s_wait_alu 0xfffe
	s_cmp_lg_u32 s8, 0x3e8
	v_add_nc_u32_e32 v2, 1, v4
	v_lshlrev_b64_e32 v[8:9], 2, v[4:5]
	v_add_nc_u32_e32 v4, 2, v4
	s_delay_alu instid0(VALU_DEP_3) | instskip(NEXT) | instid1(VALU_DEP_2)
	v_lshlrev_b64_e32 v[2:3], 2, v[2:3]
	v_lshlrev_b64_e32 v[10:11], 2, v[4:5]
	s_delay_alu instid0(VALU_DEP_4) | instskip(SKIP_2) | instid1(VALU_DEP_4)
	v_add_co_u32 v8, vcc_lo, s6, v8
	s_wait_alu 0xfffd
	v_add_co_ci_u32_e64 v9, null, s7, v9, vcc_lo
	v_add_co_u32 v2, vcc_lo, s6, v2
	s_wait_alu 0xfffd
	v_add_co_ci_u32_e64 v3, null, s7, v3, vcc_lo
	;; [unrolled: 3-line block ×3, first 2 shown]
	s_clause 0x2
	global_load_b32 v10, v[8:9], off
	global_load_b32 v9, v[2:3], off
	;; [unrolled: 1-line block ×3, first 2 shown]
	v_mov_b32_e32 v11, v1
	s_wait_loadcnt 0x0
	;;#ASMSTART
	ds_store_b128 v5, v[8:11] 	
s_wait_dscnt 0x0
	;;#ASMEND
	s_cbranch_scc0 .LBB1_12
.LBB1_4:                                ; =>This Inner Loop Header: Depth=1
	;;#ASMSTART
	ds_load_b128 v[1:4], v5 	
s_wait_dscnt 0x0
	;;#ASMEND
	v_lshl_add_u32 v4, v4, 1, v4
	s_mov_b32 s10, exec_lo
	s_delay_alu instid0(VALU_DEP_1) | instskip(SKIP_1) | instid1(VALU_DEP_1)
	v_lshlrev_b64_e32 v[8:9], 2, v[4:5]
	s_wait_kmcnt 0x0
	v_add_co_u32 v8, vcc_lo, s6, v8
	s_wait_alu 0xfffd
	s_delay_alu instid0(VALU_DEP_2)
	v_add_co_ci_u32_e64 v9, null, s7, v9, vcc_lo
	global_load_b32 v8, v[8:9], off
	s_wait_loadcnt 0x0
	v_cmp_ne_u32_e64 s9, v8, v3
	v_cmpx_eq_u32_e64 v8, v3
	s_cbranch_execz .LBB1_8
; %bb.5:                                ;   in Loop: Header=BB1_4 Depth=1
	v_dual_mov_b32 v9, v5 :: v_dual_add_nc_u32 v8, 1, v4
	s_mov_b32 s12, exec_lo
	s_delay_alu instid0(VALU_DEP_1) | instskip(NEXT) | instid1(VALU_DEP_1)
	v_lshlrev_b64_e32 v[8:9], 2, v[8:9]
	v_add_co_u32 v8, vcc_lo, s6, v8
	s_wait_alu 0xfffd
	s_delay_alu instid0(VALU_DEP_2)
	v_add_co_ci_u32_e64 v9, null, s7, v9, vcc_lo
	global_load_b32 v3, v[8:9], off
	s_wait_loadcnt 0x0
	v_cmp_ne_u32_e64 s11, v3, v2
	v_cmpx_eq_u32_e64 v3, v2
	s_cbranch_execz .LBB1_7
; %bb.6:                                ;   in Loop: Header=BB1_4 Depth=1
	v_add_nc_u32_e32 v4, 2, v4
	s_and_not1_b32 s11, s11, exec_lo
	s_delay_alu instid0(VALU_DEP_1) | instskip(NEXT) | instid1(VALU_DEP_1)
	v_lshlrev_b64_e32 v[2:3], 2, v[4:5]
	v_add_co_u32 v2, vcc_lo, s6, v2
	s_wait_alu 0xfffd
	s_delay_alu instid0(VALU_DEP_2) | instskip(SKIP_4) | instid1(SALU_CYCLE_1)
	v_add_co_ci_u32_e64 v3, null, s7, v3, vcc_lo
	global_load_b32 v2, v[2:3], off
	s_wait_loadcnt 0x0
	v_cmp_ne_u32_e32 vcc_lo, v2, v1
	s_and_b32 s13, vcc_lo, exec_lo
	s_or_b32 s11, s11, s13
.LBB1_7:                                ;   in Loop: Header=BB1_4 Depth=1
	s_or_b32 exec_lo, exec_lo, s12
	s_delay_alu instid0(SALU_CYCLE_1)
	s_and_not1_b32 s9, s9, exec_lo
	s_and_b32 s11, s11, exec_lo
	s_wait_alu 0xfffe
	s_or_b32 s9, s9, s11
.LBB1_8:                                ;   in Loop: Header=BB1_4 Depth=1
	s_or_b32 exec_lo, exec_lo, s10
	s_wait_alu 0xfffe
	s_and_saveexec_b32 s10, s9
	s_cbranch_execz .LBB1_10
; %bb.9:                                ;   in Loop: Header=BB1_4 Depth=1
	global_store_b8 v5, v6, s[4:5]
.LBB1_10:                               ;   in Loop: Header=BB1_4 Depth=1
	s_or_b32 exec_lo, exec_lo, s10
	s_load_b32 s9, s[0:1], 0xc
	s_wait_kmcnt 0x0
	s_and_b32 s9, s9, 0xffff
	s_wait_alu 0xfffe
	s_mul_i32 s9, ttmp9, s9
	s_wait_alu 0xfffe
	v_add3_u32 v4, s9, s8, v0
	s_mov_b32 s9, exec_lo
	s_delay_alu instid0(VALU_DEP_1)
	v_dual_mov_b32 v1, v4 :: v_dual_mov_b32 v2, v5
	v_cmpx_le_u64_e64 s[2:3], v[4:5]
	s_cbranch_execz .LBB1_3
; %bb.11:                               ;   in Loop: Header=BB1_4 Depth=1
	v_mul_hi_u32 v1, v4, v7
	s_delay_alu instid0(VALU_DEP_1) | instskip(NEXT) | instid1(VALU_DEP_1)
	v_mul_lo_u32 v1, v1, s2
	v_sub_nc_u32_e32 v1, v4, v1
	s_delay_alu instid0(VALU_DEP_1) | instskip(SKIP_2) | instid1(VALU_DEP_2)
	v_subrev_nc_u32_e32 v2, s2, v1
	v_cmp_le_u32_e32 vcc_lo, s2, v1
	s_wait_alu 0xfffd
	v_cndmask_b32_e32 v1, v1, v2, vcc_lo
	s_delay_alu instid0(VALU_DEP_1) | instskip(SKIP_2) | instid1(VALU_DEP_2)
	v_subrev_nc_u32_e32 v2, s2, v1
	v_cmp_le_u32_e32 vcc_lo, s2, v1
	s_wait_alu 0xfffd
	v_cndmask_b32_e32 v1, v1, v2, vcc_lo
	s_branch .LBB1_3
.LBB1_12:
	s_endpgm
	.section	.rodata,"a",@progbits
	.p2align	6, 0x0
	.amdhsa_kernel _Z11test_sharedPbPKjm
		.amdhsa_group_segment_fixed_size 16
		.amdhsa_private_segment_fixed_size 0
		.amdhsa_kernarg_size 280
		.amdhsa_user_sgpr_count 2
		.amdhsa_user_sgpr_dispatch_ptr 0
		.amdhsa_user_sgpr_queue_ptr 0
		.amdhsa_user_sgpr_kernarg_segment_ptr 1
		.amdhsa_user_sgpr_dispatch_id 0
		.amdhsa_user_sgpr_private_segment_size 0
		.amdhsa_wavefront_size32 1
		.amdhsa_uses_dynamic_stack 0
		.amdhsa_enable_private_segment 0
		.amdhsa_system_sgpr_workgroup_id_x 1
		.amdhsa_system_sgpr_workgroup_id_y 0
		.amdhsa_system_sgpr_workgroup_id_z 0
		.amdhsa_system_sgpr_workgroup_info 0
		.amdhsa_system_vgpr_workitem_id 0
		.amdhsa_next_free_vgpr 14
		.amdhsa_next_free_sgpr 14
		.amdhsa_reserve_vcc 1
		.amdhsa_float_round_mode_32 0
		.amdhsa_float_round_mode_16_64 0
		.amdhsa_float_denorm_mode_32 3
		.amdhsa_float_denorm_mode_16_64 3
		.amdhsa_fp16_overflow 0
		.amdhsa_workgroup_processor_mode 1
		.amdhsa_memory_ordered 1
		.amdhsa_forward_progress 1
		.amdhsa_inst_pref_size 7
		.amdhsa_round_robin_scheduling 0
		.amdhsa_exception_fp_ieee_invalid_op 0
		.amdhsa_exception_fp_denorm_src 0
		.amdhsa_exception_fp_ieee_div_zero 0
		.amdhsa_exception_fp_ieee_overflow 0
		.amdhsa_exception_fp_ieee_underflow 0
		.amdhsa_exception_fp_ieee_inexact 0
		.amdhsa_exception_int_div_zero 0
	.end_amdhsa_kernel
	.text
.Lfunc_end1:
	.size	_Z11test_sharedPbPKjm, .Lfunc_end1-_Z11test_sharedPbPKjm
                                        ; -- End function
	.set _Z11test_sharedPbPKjm.num_vgpr, 14
	.set _Z11test_sharedPbPKjm.num_agpr, 0
	.set _Z11test_sharedPbPKjm.numbered_sgpr, 14
	.set _Z11test_sharedPbPKjm.num_named_barrier, 0
	.set _Z11test_sharedPbPKjm.private_seg_size, 0
	.set _Z11test_sharedPbPKjm.uses_vcc, 1
	.set _Z11test_sharedPbPKjm.uses_flat_scratch, 0
	.set _Z11test_sharedPbPKjm.has_dyn_sized_stack, 0
	.set _Z11test_sharedPbPKjm.has_recursion, 0
	.set _Z11test_sharedPbPKjm.has_indirect_call, 0
	.section	.AMDGPU.csdata,"",@progbits
; Kernel info:
; codeLenInByte = 772
; TotalNumSgprs: 16
; NumVgprs: 14
; ScratchSize: 0
; MemoryBound: 0
; FloatMode: 240
; IeeeMode: 1
; LDSByteSize: 16 bytes/workgroup (compile time only)
; SGPRBlocks: 0
; VGPRBlocks: 1
; NumSGPRsForWavesPerEU: 16
; NumVGPRsForWavesPerEU: 14
; Occupancy: 16
; WaveLimiterHint : 0
; COMPUTE_PGM_RSRC2:SCRATCH_EN: 0
; COMPUTE_PGM_RSRC2:USER_SGPR: 2
; COMPUTE_PGM_RSRC2:TRAP_HANDLER: 0
; COMPUTE_PGM_RSRC2:TGID_X_EN: 1
; COMPUTE_PGM_RSRC2:TGID_Y_EN: 0
; COMPUTE_PGM_RSRC2:TGID_Z_EN: 0
; COMPUTE_PGM_RSRC2:TIDIG_COMP_CNT: 0
	.text
	.protected	_Z9test_flatPoPbPKjm    ; -- Begin function _Z9test_flatPoPbPKjm
	.globl	_Z9test_flatPoPbPKjm
	.p2align	8
	.type	_Z9test_flatPoPbPKjm,@function
_Z9test_flatPoPbPKjm:                   ; @_Z9test_flatPoPbPKjm
; %bb.0:
	s_mov_b32 s2, 0
	s_mov_b32 s3, exec_lo
	v_cmpx_eq_u32_e32 0, v0
	s_cbranch_execz .LBB2_2
; %bb.1:
	v_mov_b32_e32 v1, 0
	s_delay_alu instid0(VALU_DEP_1)
	v_dual_mov_b32 v2, v1 :: v_dual_mov_b32 v3, v1
	v_mov_b32_e32 v4, v1
	ds_store_b128 v1, v[1:4]
.LBB2_2:
	s_or_b32 exec_lo, exec_lo, s3
	s_load_b256 s[4:11], s[0:1], 0x0
	s_mov_b64 s[12:13], src_shared_base
	v_mov_b32_e32 v9, 1
	s_add_nc_u64 s[0:1], s[0:1], 32
	s_mov_b64 s[16:17], 1
	s_wait_dscnt 0x0
	s_barrier_signal -1
	s_barrier_wait -1
	global_inv scope:SCOPE_SE
	s_wait_kmcnt 0x0
	v_cvt_f32_u32_e32 v1, s10
	s_cvt_f32_u32 s3, s10
	s_cvt_f32_u32 s12, s11
	s_sub_nc_u64 s[18:19], 0, s[10:11]
	s_delay_alu instid0(VALU_DEP_1) | instskip(NEXT) | instid1(SALU_CYCLE_1)
	v_rcp_iflag_f32_e32 v1, v1
	s_fmamk_f32 s3, s12, 0x4f800000, s3
	s_sub_co_i32 s12, 0, s10
	s_delay_alu instid0(SALU_CYCLE_2) | instskip(NEXT) | instid1(TRANS32_DEP_2)
	v_s_rcp_f32 s3, s3
	v_mul_f32_e32 v1, 0x4f7ffffe, v1
	s_delay_alu instid0(TRANS32_DEP_1) | instskip(NEXT) | instid1(VALU_DEP_1)
	s_mul_f32 s3, s3, 0x5f7ffffc
	v_cvt_u32_f32_e32 v8, v1
	s_wait_alu 0xfffe
	s_delay_alu instid0(SALU_CYCLE_1) | instskip(NEXT) | instid1(SALU_CYCLE_3)
	s_mul_f32 s14, s3, 0x2f800000
	s_trunc_f32 s15, s14
	s_delay_alu instid0(VALU_DEP_1) | instskip(NEXT) | instid1(SALU_CYCLE_2)
	v_mul_lo_u32 v1, s12, v8
	s_fmamk_f32 s3, s15, 0xcf800000, s3
	s_cvt_u32_f32 s15, s15
	s_wait_alu 0xfffe
	s_delay_alu instid0(SALU_CYCLE_1) | instskip(NEXT) | instid1(VALU_DEP_1)
	s_cvt_u32_f32 s14, s3
	v_mul_hi_u32 v1, v8, v1
	s_delay_alu instid0(VALU_DEP_1)
	v_dual_mov_b32 v5, 0 :: v_dual_add_nc_u32 v10, v8, v1
	s_branch .LBB2_4
.LBB2_3:                                ;   in Loop: Header=BB2_4 Depth=1
	v_add_nc_u32_e32 v0, 1, v0
	s_add_nc_u64 s[16:17], s[16:17], 2
	s_delay_alu instid0(SALU_CYCLE_1)
	s_cmp_lg_u32 s16, 0x7d1
	s_cbranch_scc0 .LBB2_36
.LBB2_4:                                ; =>This Inner Loop Header: Depth=1
	s_add_nc_u64 s[20:21], s[16:17], -1
	s_wait_alu 0xfffe
	s_or_b64 s[22:23], s[20:21], s[10:11]
	s_delay_alu instid0(SALU_CYCLE_1)
	s_mov_b32 s3, s23
                                        ; implicit-def: $sgpr22_sgpr23
	s_wait_alu 0xfffe
	s_cmp_lg_u64 s[2:3], 0
	s_mov_b32 s3, -1
	s_cbranch_scc0 .LBB2_6
; %bb.5:                                ;   in Loop: Header=BB2_4 Depth=1
	s_mul_u64 s[22:23], s[18:19], s[14:15]
	s_mov_b32 s27, s2
	s_mul_hi_u32 s25, s14, s23
	s_mul_i32 s24, s14, s23
	s_mul_hi_u32 s26, s14, s22
	s_mul_hi_u32 s3, s15, s22
	s_add_nc_u64 s[24:25], s[26:27], s[24:25]
	s_mul_i32 s22, s15, s22
	s_mul_hi_u32 s26, s15, s23
	s_add_co_u32 s22, s24, s22
	s_wait_alu 0xfffe
	s_add_co_ci_u32 s22, s25, s3
	s_add_co_ci_u32 s25, s26, 0
	s_mul_i32 s24, s15, s23
	s_mov_b32 s23, s2
	s_mov_b32 s29, s2
	s_add_nc_u64 s[22:23], s[22:23], s[24:25]
	s_delay_alu instid0(SALU_CYCLE_1) | instskip(SKIP_4) | instid1(SALU_CYCLE_1)
	s_add_co_u32 s22, s14, s22
	s_cselect_b32 s3, -1, 0
	s_wait_alu 0xfffe
	s_cmp_lg_u32 s3, 0
	s_add_co_ci_u32 s23, s15, s23
	s_mul_u64 s[24:25], s[18:19], s[22:23]
	s_delay_alu instid0(SALU_CYCLE_1)
	s_mul_hi_u32 s27, s22, s25
	s_mul_i32 s26, s22, s25
	s_mul_hi_u32 s28, s22, s24
	s_mul_hi_u32 s3, s23, s24
	s_mul_i32 s24, s23, s24
	s_add_nc_u64 s[26:27], s[28:29], s[26:27]
	s_mul_hi_u32 s28, s23, s25
	s_add_co_u32 s24, s26, s24
	s_wait_alu 0xfffe
	s_add_co_ci_u32 s24, s27, s3
	s_add_co_ci_u32 s27, s28, 0
	s_mul_i32 s26, s23, s25
	s_mov_b32 s25, s2
	s_delay_alu instid0(SALU_CYCLE_1) | instskip(NEXT) | instid1(SALU_CYCLE_1)
	s_add_nc_u64 s[24:25], s[24:25], s[26:27]
	s_add_co_u32 s3, s22, s24
	s_cselect_b32 s22, -1, 0
	s_wait_alu 0xfffe
	s_mul_hi_u32 s24, s20, s3
	s_cmp_lg_u32 s22, 0
	s_add_co_ci_u32 s26, s23, s25
	s_mov_b32 s25, s2
	s_mul_hi_u32 s23, s20, s26
	s_mul_i32 s22, s20, s26
	s_delay_alu instid0(SALU_CYCLE_1)
	s_add_nc_u64 s[22:23], s[24:25], s[22:23]
	s_mul_i32 s25, s21, s3
	s_mul_hi_u32 s3, s21, s3
	s_mul_hi_u32 s24, s21, s26
	s_add_co_u32 s22, s22, s25
	s_wait_alu 0xfffe
	s_add_co_ci_u32 s22, s23, s3
	s_add_co_ci_u32 s25, s24, 0
	s_mul_i32 s24, s21, s26
	s_mov_b32 s23, s2
	s_delay_alu instid0(SALU_CYCLE_1) | instskip(NEXT) | instid1(SALU_CYCLE_1)
	s_add_nc_u64 s[22:23], s[22:23], s[24:25]
	s_mul_u64 s[22:23], s[10:11], s[22:23]
	s_delay_alu instid0(SALU_CYCLE_1)
	s_sub_co_u32 s3, s20, s22
	s_cselect_b32 s22, -1, 0
	s_sub_co_i32 s24, s21, s23
	s_cmp_lg_u32 s22, 0
	s_sub_co_ci_u32 s24, s24, s11
	s_wait_alu 0xfffe
	s_sub_co_u32 s25, s3, s10
	s_cselect_b32 s26, -1, 0
	s_delay_alu instid0(SALU_CYCLE_1) | instskip(SKIP_1) | instid1(SALU_CYCLE_1)
	s_cmp_lg_u32 s26, 0
	s_sub_co_ci_u32 s27, s24, 0
	s_cmp_ge_u32 s27, s11
	s_cselect_b32 s28, -1, 0
	s_cmp_ge_u32 s25, s10
	s_cselect_b32 s29, -1, 0
	s_cmp_eq_u32 s27, s11
	s_cselect_b32 s28, s29, s28
	s_cmp_lg_u32 s26, 0
	s_sub_co_ci_u32 s24, s24, s11
	s_sub_co_u32 s26, s25, s10
	s_cselect_b32 s29, -1, 0
	s_delay_alu instid0(SALU_CYCLE_1)
	s_cmp_lg_u32 s29, 0
	s_sub_co_ci_u32 s24, s24, 0
	s_cmp_lg_u32 s28, 0
	s_cselect_b32 s25, s26, s25
	s_cselect_b32 s24, s24, s27
	s_cmp_lg_u32 s22, 0
	s_sub_co_ci_u32 s21, s21, s23
	s_wait_alu 0xfffe
	s_cmp_ge_u32 s21, s11
	s_cselect_b32 s22, -1, 0
	s_cmp_ge_u32 s3, s10
	s_cselect_b32 s23, -1, 0
	s_cmp_eq_u32 s21, s11
	s_cselect_b32 s22, s23, s22
	s_delay_alu instid0(SALU_CYCLE_1)
	s_cmp_lg_u32 s22, 0
	s_cselect_b32 s23, s24, s21
	s_cselect_b32 s22, s25, s3
	s_mov_b32 s3, 0
.LBB2_6:                                ;   in Loop: Header=BB2_4 Depth=1
	s_wait_alu 0xfffe
	s_and_not1_b32 vcc_lo, exec_lo, s3
	s_wait_alu 0xfffe
	s_cbranch_vccnz .LBB2_8
; %bb.7:                                ;   in Loop: Header=BB2_4 Depth=1
	v_readfirstlane_b32 s3, v8
	s_mov_b32 s23, s2
	s_mul_i32 s21, s12, s3
	s_wait_alu 0xfffe
	s_mul_hi_u32 s21, s3, s21
	s_wait_alu 0xfffe
	s_add_co_i32 s3, s3, s21
	s_wait_alu 0xfffe
	s_mul_hi_u32 s3, s20, s3
	s_wait_alu 0xfffe
	s_mul_i32 s3, s3, s10
	s_wait_alu 0xfffe
	s_sub_co_i32 s3, s20, s3
	s_wait_alu 0xfffe
	s_sub_co_i32 s20, s3, s10
	s_cmp_ge_u32 s3, s10
	s_wait_alu 0xfffe
	s_cselect_b32 s3, s20, s3
	s_wait_alu 0xfffe
	s_sub_co_i32 s20, s3, s10
	s_cmp_ge_u32 s3, s10
	s_wait_alu 0xfffe
	s_cselect_b32 s22, s20, s3
.LBB2_8:                                ;   in Loop: Header=BB2_4 Depth=1
	s_delay_alu instid0(SALU_CYCLE_1)
	s_lshl_b64 s[20:21], s[22:23], 2
	s_wait_alu 0xfffe
	s_add_nc_u64 s[20:21], s[8:9], s[20:21]
	global_load_b32 v1, v5, s[20:21]
	s_wait_loadcnt 0x0
	v_readfirstlane_b32 s3, v1
                                        ; implicit-def: $vgpr4
	s_bitcmp0_b32 s3, 0
	s_cselect_b32 s21, s5, s13
	s_cselect_b32 s20, s4, 0
	s_wait_alu 0xfffe
	s_cmp_eq_u32 s21, s13
	s_cselect_b32 s3, -1, 0
	s_wait_alu 0xfffe
	s_and_not1_b32 vcc_lo, exec_lo, s3
	s_mov_b32 s3, -1
	s_wait_alu 0xfffe
	s_cbranch_vccz .LBB2_14
; %bb.9:                                ;   in Loop: Header=BB2_4 Depth=1
	s_mov_b64 s[22:23], src_private_base
                                        ; implicit-def: $vgpr4
	s_delay_alu instid0(SALU_CYCLE_1)
	s_cmp_eq_u32 s21, s23
	s_cselect_b32 s3, -1, 0
	s_wait_alu 0xfffe
	s_and_not1_b32 vcc_lo, exec_lo, s3
	s_mov_b32 s3, -1
	s_wait_alu 0xfffe
	s_cbranch_vccz .LBB2_11
; %bb.10:                               ;   in Loop: Header=BB2_4 Depth=1
	v_dual_mov_b32 v1, s20 :: v_dual_mov_b32 v2, s21
	;;#ASMSTART
	global_load_b128 v[1:4], v[1:2] off scope:SCOPE_DEV	
s_wait_loadcnt 0x0
	;;#ASMEND
	s_mov_b32 s3, 0
.LBB2_11:                               ;   in Loop: Header=BB2_4 Depth=1
	s_wait_alu 0xfffe
	s_and_not1_b32 vcc_lo, exec_lo, s3
	s_wait_alu 0xfffe
	s_cbranch_vccnz .LBB2_13
; %bb.12:                               ;   in Loop: Header=BB2_4 Depth=1
	v_dual_mov_b32 v1, s20 :: v_dual_mov_b32 v2, s21
	;;#ASMSTART
	flat_load_b128 v[1:4], v[1:2] scope:SCOPE_DEV	
s_wait_loadcnt_dscnt 0x0
	;;#ASMEND
.LBB2_13:                               ;   in Loop: Header=BB2_4 Depth=1
	s_mov_b32 s3, 0
.LBB2_14:                               ;   in Loop: Header=BB2_4 Depth=1
	s_wait_alu 0xfffe
	s_and_not1_b32 vcc_lo, exec_lo, s3
	s_wait_alu 0xfffe
	s_cbranch_vccnz .LBB2_16
; %bb.15:                               ;   in Loop: Header=BB2_4 Depth=1
	s_cmp_lg_u64 s[20:21], 0
	s_cselect_b32 s3, s20, -1
	s_wait_alu 0xfffe
	v_mov_b32_e32 v1, s3
	;;#ASMSTART
	ds_load_b128 v[1:4], v1 	
s_wait_dscnt 0x0
	;;#ASMEND
.LBB2_16:                               ;   in Loop: Header=BB2_4 Depth=1
	v_lshl_add_u32 v4, v4, 1, v4
	s_mov_b32 s20, exec_lo
	s_delay_alu instid0(VALU_DEP_1) | instskip(NEXT) | instid1(VALU_DEP_1)
	v_lshlrev_b64_e32 v[6:7], 2, v[4:5]
	v_add_co_u32 v6, vcc_lo, s8, v6
	s_wait_alu 0xfffd
	s_delay_alu instid0(VALU_DEP_2)
	v_add_co_ci_u32_e64 v7, null, s9, v7, vcc_lo
	global_load_b32 v6, v[6:7], off
	s_wait_loadcnt 0x0
	v_cmp_ne_u32_e64 s3, v6, v3
	v_cmpx_eq_u32_e64 v6, v3
	s_cbranch_execz .LBB2_20
; %bb.17:                               ;   in Loop: Header=BB2_4 Depth=1
	v_dual_mov_b32 v7, v5 :: v_dual_add_nc_u32 v6, 1, v4
	s_mov_b32 s22, exec_lo
	s_delay_alu instid0(VALU_DEP_1) | instskip(NEXT) | instid1(VALU_DEP_1)
	v_lshlrev_b64_e32 v[6:7], 2, v[6:7]
	v_add_co_u32 v6, vcc_lo, s8, v6
	s_wait_alu 0xfffd
	s_delay_alu instid0(VALU_DEP_2)
	v_add_co_ci_u32_e64 v7, null, s9, v7, vcc_lo
	global_load_b32 v3, v[6:7], off
	s_wait_loadcnt 0x0
	v_cmp_ne_u32_e64 s21, v3, v2
	v_cmpx_eq_u32_e64 v3, v2
	s_cbranch_execz .LBB2_19
; %bb.18:                               ;   in Loop: Header=BB2_4 Depth=1
	v_add_nc_u32_e32 v4, 2, v4
	s_and_not1_b32 s21, s21, exec_lo
	s_delay_alu instid0(VALU_DEP_1) | instskip(NEXT) | instid1(VALU_DEP_1)
	v_lshlrev_b64_e32 v[2:3], 2, v[4:5]
	v_add_co_u32 v2, vcc_lo, s8, v2
	s_wait_alu 0xfffd
	s_delay_alu instid0(VALU_DEP_2)
	v_add_co_ci_u32_e64 v3, null, s9, v3, vcc_lo
	global_load_b32 v2, v[2:3], off
	s_wait_loadcnt 0x0
	v_cmp_ne_u32_e32 vcc_lo, v2, v1
	s_and_b32 s23, vcc_lo, exec_lo
	s_wait_alu 0xfffe
	s_or_b32 s21, s21, s23
.LBB2_19:                               ;   in Loop: Header=BB2_4 Depth=1
	s_or_b32 exec_lo, exec_lo, s22
	s_delay_alu instid0(SALU_CYCLE_1)
	s_and_not1_b32 s3, s3, exec_lo
	s_wait_alu 0xfffe
	s_and_b32 s21, s21, exec_lo
	s_wait_alu 0xfffe
	s_or_b32 s3, s3, s21
.LBB2_20:                               ;   in Loop: Header=BB2_4 Depth=1
	s_wait_alu 0xfffe
	s_or_b32 exec_lo, exec_lo, s20
	s_and_saveexec_b32 s20, s3
	s_cbranch_execz .LBB2_22
; %bb.21:                               ;   in Loop: Header=BB2_4 Depth=1
	global_store_b8 v5, v9, s[6:7]
.LBB2_22:                               ;   in Loop: Header=BB2_4 Depth=1
	s_wait_alu 0xfffe
	s_or_b32 exec_lo, exec_lo, s20
	s_load_b32 s3, s[0:1], 0xc
	s_wait_kmcnt 0x0
	s_and_b32 s3, s3, 0xffff
	s_wait_alu 0xfffe
	v_mad_co_u64_u32 v[1:2], null, ttmp9, s3, v[0:1]
	s_mov_b32 s3, exec_lo
	v_mov_b32_e32 v4, v1
	s_delay_alu instid0(VALU_DEP_1)
	v_dual_mov_b32 v7, v5 :: v_dual_mov_b32 v6, v4
	v_cmpx_le_u64_e64 s[10:11], v[4:5]
	s_cbranch_execz .LBB2_24
; %bb.23:                               ;   in Loop: Header=BB2_4 Depth=1
	v_mul_hi_u32 v1, v4, v10
	s_delay_alu instid0(VALU_DEP_1) | instskip(NEXT) | instid1(VALU_DEP_1)
	v_mul_lo_u32 v1, v1, s10
	v_sub_nc_u32_e32 v1, v4, v1
	s_delay_alu instid0(VALU_DEP_1) | instskip(SKIP_2) | instid1(VALU_DEP_2)
	v_subrev_nc_u32_e32 v2, s10, v1
	v_cmp_le_u32_e32 vcc_lo, s10, v1
	s_wait_alu 0xfffd
	v_cndmask_b32_e32 v1, v1, v2, vcc_lo
	s_delay_alu instid0(VALU_DEP_1) | instskip(SKIP_2) | instid1(VALU_DEP_2)
	v_subrev_nc_u32_e32 v2, s10, v1
	v_cmp_le_u32_e32 vcc_lo, s10, v1
	s_wait_alu 0xfffd
	v_cndmask_b32_e32 v6, v1, v2, vcc_lo
.LBB2_24:                               ;   in Loop: Header=BB2_4 Depth=1
	s_wait_alu 0xfffe
	s_or_b32 exec_lo, exec_lo, s3
	s_delay_alu instid0(VALU_DEP_1)
	v_lshl_add_u32 v4, v6, 1, v6
	v_mov_b32_e32 v2, v5
	s_or_b64 s[20:21], s[16:17], s[10:11]
	s_wait_alu 0xfffe
	s_mov_b32 s3, s21
	v_add_nc_u32_e32 v1, 1, v4
	v_lshlrev_b64_e32 v[11:12], 2, v[4:5]
	v_add_nc_u32_e32 v4, 2, v4
	s_wait_alu 0xfffe
	s_cmp_lg_u64 s[2:3], 0
	v_lshlrev_b64_e32 v[1:2], 2, v[1:2]
	s_delay_alu instid0(VALU_DEP_2) | instskip(SKIP_3) | instid1(VALU_DEP_4)
	v_lshlrev_b64_e32 v[3:4], 2, v[4:5]
	v_add_co_u32 v11, vcc_lo, s8, v11
	s_wait_alu 0xfffd
	v_add_co_ci_u32_e64 v12, null, s9, v12, vcc_lo
	v_add_co_u32 v1, vcc_lo, s8, v1
	s_wait_alu 0xfffd
	v_add_co_ci_u32_e64 v2, null, s9, v2, vcc_lo
	;; [unrolled: 3-line block ×3, first 2 shown]
	s_clause 0x2
	global_load_b32 v3, v[11:12], off
	global_load_b32 v2, v[1:2], off
	;; [unrolled: 1-line block ×3, first 2 shown]
	s_cbranch_scc0 .LBB2_35
; %bb.25:                               ;   in Loop: Header=BB2_4 Depth=1
	s_mul_u64 s[20:21], s[18:19], s[14:15]
	s_mov_b32 s25, s2
	s_wait_alu 0xfffe
	s_mul_hi_u32 s23, s14, s21
	s_mul_i32 s22, s14, s21
	s_mul_hi_u32 s24, s14, s20
	s_mul_hi_u32 s3, s15, s20
	s_add_nc_u64 s[22:23], s[24:25], s[22:23]
	s_mul_i32 s20, s15, s20
	s_mul_hi_u32 s24, s15, s21
	s_wait_alu 0xfffe
	s_add_co_u32 s20, s22, s20
	s_add_co_ci_u32 s20, s23, s3
	s_add_co_ci_u32 s23, s24, 0
	s_mul_i32 s22, s15, s21
	s_mov_b32 s21, s2
	s_mov_b32 s27, s2
	s_wait_alu 0xfffe
	s_add_nc_u64 s[20:21], s[20:21], s[22:23]
	s_wait_alu 0xfffe
	s_add_co_u32 s20, s14, s20
	s_cselect_b32 s3, -1, 0
	s_wait_alu 0xfffe
	s_cmp_lg_u32 s3, 0
	s_add_co_ci_u32 s21, s15, s21
	s_wait_alu 0xfffe
	s_mul_u64 s[22:23], s[18:19], s[20:21]
	s_delay_alu instid0(SALU_CYCLE_1)
	s_mul_hi_u32 s25, s20, s23
	s_mul_i32 s24, s20, s23
	s_mul_hi_u32 s26, s20, s22
	s_mul_hi_u32 s3, s21, s22
	s_mul_i32 s22, s21, s22
	s_add_nc_u64 s[24:25], s[26:27], s[24:25]
	s_mul_hi_u32 s26, s21, s23
	s_add_co_u32 s22, s24, s22
	s_wait_alu 0xfffe
	s_add_co_ci_u32 s22, s25, s3
	s_add_co_ci_u32 s25, s26, 0
	s_mul_i32 s24, s21, s23
	s_mov_b32 s23, s2
	s_delay_alu instid0(SALU_CYCLE_1) | instskip(NEXT) | instid1(SALU_CYCLE_1)
	s_add_nc_u64 s[22:23], s[22:23], s[24:25]
	s_add_co_u32 s3, s20, s22
	s_cselect_b32 s20, -1, 0
	s_wait_alu 0xfffe
	s_mul_hi_u32 s22, s16, s3
	s_cmp_lg_u32 s20, 0
	s_add_co_ci_u32 s24, s21, s23
	s_mov_b32 s23, s2
	s_mul_hi_u32 s21, s16, s24
	s_mul_i32 s20, s16, s24
	s_wait_alu 0xfffe
	s_add_nc_u64 s[20:21], s[22:23], s[20:21]
	s_mul_i32 s23, s17, s3
	s_mul_hi_u32 s3, s17, s3
	s_mul_hi_u32 s22, s17, s24
	s_wait_alu 0xfffe
	s_add_co_u32 s20, s20, s23
	s_add_co_ci_u32 s20, s21, s3
	s_add_co_ci_u32 s23, s22, 0
	s_mul_i32 s22, s17, s24
	s_mov_b32 s21, s2
	s_wait_alu 0xfffe
	s_add_nc_u64 s[20:21], s[20:21], s[22:23]
	s_wait_alu 0xfffe
	s_mul_u64 s[20:21], s[10:11], s[20:21]
	s_wait_alu 0xfffe
	s_sub_co_u32 s3, s16, s20
	s_cselect_b32 s20, -1, 0
	s_sub_co_i32 s22, s17, s21
	s_wait_alu 0xfffe
	s_cmp_lg_u32 s20, 0
	s_sub_co_ci_u32 s22, s22, s11
	s_sub_co_u32 s23, s3, s10
	s_cselect_b32 s24, -1, 0
	s_delay_alu instid0(SALU_CYCLE_1) | instskip(SKIP_1) | instid1(SALU_CYCLE_1)
	s_cmp_lg_u32 s24, 0
	s_sub_co_ci_u32 s25, s22, 0
	s_cmp_ge_u32 s25, s11
	s_cselect_b32 s26, -1, 0
	s_cmp_ge_u32 s23, s10
	s_cselect_b32 s27, -1, 0
	s_cmp_eq_u32 s25, s11
	s_cselect_b32 s26, s27, s26
	s_cmp_lg_u32 s24, 0
	s_sub_co_ci_u32 s22, s22, s11
	s_sub_co_u32 s24, s23, s10
	s_cselect_b32 s27, -1, 0
	s_delay_alu instid0(SALU_CYCLE_1)
	s_cmp_lg_u32 s27, 0
	s_sub_co_ci_u32 s22, s22, 0
	s_cmp_lg_u32 s26, 0
	s_cselect_b32 s23, s24, s23
	s_cselect_b32 s22, s22, s25
	s_cmp_lg_u32 s20, 0
	s_sub_co_ci_u32 s20, s17, s21
	s_wait_alu 0xfffe
	s_cmp_ge_u32 s20, s11
	s_cselect_b32 s21, -1, 0
	s_cmp_ge_u32 s3, s10
	s_cselect_b32 s24, -1, 0
	s_cmp_eq_u32 s20, s11
	s_wait_alu 0xfffe
	s_cselect_b32 s21, s24, s21
	s_wait_alu 0xfffe
	s_cmp_lg_u32 s21, 0
	s_cselect_b32 s21, s22, s20
	s_cselect_b32 s20, s23, s3
	s_cbranch_execnz .LBB2_27
.LBB2_26:                               ;   in Loop: Header=BB2_4 Depth=1
	v_readfirstlane_b32 s3, v8
	s_mov_b32 s21, s2
	s_mul_i32 s20, s12, s3
	s_wait_alu 0xfffe
	s_mul_hi_u32 s20, s3, s20
	s_wait_alu 0xfffe
	s_add_co_i32 s3, s3, s20
	s_wait_alu 0xfffe
	s_mul_hi_u32 s3, s16, s3
	s_wait_alu 0xfffe
	s_mul_i32 s3, s3, s10
	s_wait_alu 0xfffe
	s_sub_co_i32 s3, s16, s3
	s_wait_alu 0xfffe
	s_sub_co_i32 s20, s3, s10
	s_cmp_ge_u32 s3, s10
	s_wait_alu 0xfffe
	s_cselect_b32 s3, s20, s3
	s_wait_alu 0xfffe
	s_sub_co_i32 s20, s3, s10
	s_cmp_ge_u32 s3, s10
	s_wait_alu 0xfffe
	s_cselect_b32 s20, s20, s3
.LBB2_27:                               ;   in Loop: Header=BB2_4 Depth=1
	s_wait_alu 0xfffe
	s_lshl_b64 s[20:21], s[20:21], 2
	s_wait_alu 0xfffe
	s_add_nc_u64 s[20:21], s[8:9], s[20:21]
	global_load_b32 v4, v5, s[20:21]
	s_wait_loadcnt 0x0
	v_readfirstlane_b32 s3, v4
	s_bitcmp0_b32 s3, 0
	s_cselect_b32 s21, s5, s13
	s_cselect_b32 s20, s4, 0
	s_wait_alu 0xfffe
	s_cmp_eq_u32 s21, s13
	s_cselect_b32 s3, -1, 0
	s_wait_alu 0xfffe
	s_and_not1_b32 vcc_lo, exec_lo, s3
	s_mov_b32 s3, -1
	s_wait_alu 0xfffe
	s_cbranch_vccnz .LBB2_29
; %bb.28:                               ;   in Loop: Header=BB2_4 Depth=1
	s_and_not1_b32 vcc_lo, exec_lo, s3
	s_wait_alu 0xfffe
	s_cbranch_vccnz .LBB2_3
	s_branch .LBB2_34
.LBB2_29:                               ;   in Loop: Header=BB2_4 Depth=1
	s_mov_b64 s[22:23], src_private_base
	s_delay_alu instid0(SALU_CYCLE_1)
	s_cmp_eq_u32 s21, s23
	s_cselect_b32 s3, -1, 0
	s_wait_alu 0xfffe
	s_and_not1_b32 vcc_lo, exec_lo, s3
	s_mov_b32 s3, -1
	s_wait_alu 0xfffe
	s_cbranch_vccz .LBB2_31
; %bb.30:                               ;   in Loop: Header=BB2_4 Depth=1
	v_dual_mov_b32 v4, v6 :: v_dual_mov_b32 v11, s20
	v_mov_b32_e32 v12, s21
	;;#ASMSTART
	global_store_b128 v[11:12], v[1:4] off scope:SCOPE_DEV	
s_wait_storecnt 0x0
	;;#ASMEND
	s_mov_b32 s3, 0
.LBB2_31:                               ;   in Loop: Header=BB2_4 Depth=1
	s_wait_alu 0xfffe
	s_and_not1_b32 vcc_lo, exec_lo, s3
	s_wait_alu 0xfffe
	s_cbranch_vccnz .LBB2_33
; %bb.32:                               ;   in Loop: Header=BB2_4 Depth=1
	v_dual_mov_b32 v4, v6 :: v_dual_mov_b32 v11, s20
	v_mov_b32_e32 v12, s21
	;;#ASMSTART
	flat_store_b128 v[11:12], v[1:4] scope:SCOPE_DEV	
s_wait_storecnt_dscnt 0x0
	;;#ASMEND
.LBB2_33:                               ;   in Loop: Header=BB2_4 Depth=1
	s_cbranch_execnz .LBB2_3
.LBB2_34:                               ;   in Loop: Header=BB2_4 Depth=1
	s_cmp_lg_u64 s[20:21], 0
	v_mov_b32_e32 v4, v6
	s_cselect_b32 s3, s20, -1
	s_wait_alu 0xfffe
	v_mov_b32_e32 v6, s3
	;;#ASMSTART
	ds_store_b128 v6, v[1:4] 	
s_wait_dscnt 0x0
	;;#ASMEND
	s_branch .LBB2_3
.LBB2_35:                               ;   in Loop: Header=BB2_4 Depth=1
                                        ; implicit-def: $sgpr20_sgpr21
	s_branch .LBB2_26
.LBB2_36:
	s_endpgm
	.section	.rodata,"a",@progbits
	.p2align	6, 0x0
	.amdhsa_kernel _Z9test_flatPoPbPKjm
		.amdhsa_group_segment_fixed_size 16
		.amdhsa_private_segment_fixed_size 0
		.amdhsa_kernarg_size 288
		.amdhsa_user_sgpr_count 2
		.amdhsa_user_sgpr_dispatch_ptr 0
		.amdhsa_user_sgpr_queue_ptr 0
		.amdhsa_user_sgpr_kernarg_segment_ptr 1
		.amdhsa_user_sgpr_dispatch_id 0
		.amdhsa_user_sgpr_private_segment_size 0
		.amdhsa_wavefront_size32 1
		.amdhsa_uses_dynamic_stack 0
		.amdhsa_enable_private_segment 0
		.amdhsa_system_sgpr_workgroup_id_x 1
		.amdhsa_system_sgpr_workgroup_id_y 0
		.amdhsa_system_sgpr_workgroup_id_z 0
		.amdhsa_system_sgpr_workgroup_info 0
		.amdhsa_system_vgpr_workitem_id 0
		.amdhsa_next_free_vgpr 15
		.amdhsa_next_free_sgpr 30
		.amdhsa_reserve_vcc 1
		.amdhsa_float_round_mode_32 0
		.amdhsa_float_round_mode_16_64 0
		.amdhsa_float_denorm_mode_32 3
		.amdhsa_float_denorm_mode_16_64 3
		.amdhsa_fp16_overflow 0
		.amdhsa_workgroup_processor_mode 1
		.amdhsa_memory_ordered 1
		.amdhsa_forward_progress 1
		.amdhsa_inst_pref_size 19
		.amdhsa_round_robin_scheduling 0
		.amdhsa_exception_fp_ieee_invalid_op 0
		.amdhsa_exception_fp_denorm_src 0
		.amdhsa_exception_fp_ieee_div_zero 0
		.amdhsa_exception_fp_ieee_overflow 0
		.amdhsa_exception_fp_ieee_underflow 0
		.amdhsa_exception_fp_ieee_inexact 0
		.amdhsa_exception_int_div_zero 0
	.end_amdhsa_kernel
	.text
.Lfunc_end2:
	.size	_Z9test_flatPoPbPKjm, .Lfunc_end2-_Z9test_flatPoPbPKjm
                                        ; -- End function
	.set _Z9test_flatPoPbPKjm.num_vgpr, 15
	.set _Z9test_flatPoPbPKjm.num_agpr, 0
	.set _Z9test_flatPoPbPKjm.numbered_sgpr, 30
	.set _Z9test_flatPoPbPKjm.num_named_barrier, 0
	.set _Z9test_flatPoPbPKjm.private_seg_size, 0
	.set _Z9test_flatPoPbPKjm.uses_vcc, 1
	.set _Z9test_flatPoPbPKjm.uses_flat_scratch, 0
	.set _Z9test_flatPoPbPKjm.has_dyn_sized_stack, 0
	.set _Z9test_flatPoPbPKjm.has_recursion, 0
	.set _Z9test_flatPoPbPKjm.has_indirect_call, 0
	.section	.AMDGPU.csdata,"",@progbits
; Kernel info:
; codeLenInByte = 2368
; TotalNumSgprs: 32
; NumVgprs: 15
; ScratchSize: 0
; MemoryBound: 0
; FloatMode: 240
; IeeeMode: 1
; LDSByteSize: 16 bytes/workgroup (compile time only)
; SGPRBlocks: 0
; VGPRBlocks: 1
; NumSGPRsForWavesPerEU: 32
; NumVGPRsForWavesPerEU: 15
; Occupancy: 16
; WaveLimiterHint : 0
; COMPUTE_PGM_RSRC2:SCRATCH_EN: 0
; COMPUTE_PGM_RSRC2:USER_SGPR: 2
; COMPUTE_PGM_RSRC2:TRAP_HANDLER: 0
; COMPUTE_PGM_RSRC2:TGID_X_EN: 1
; COMPUTE_PGM_RSRC2:TGID_Y_EN: 0
; COMPUTE_PGM_RSRC2:TGID_Z_EN: 0
; COMPUTE_PGM_RSRC2:TIDIG_COMP_CNT: 0
	.text
	.p2alignl 7, 3214868480
	.fill 96, 4, 3214868480
	.section	.AMDGPU.gpr_maximums,"",@progbits
	.set amdgpu.max_num_vgpr, 0
	.set amdgpu.max_num_agpr, 0
	.set amdgpu.max_num_sgpr, 0
	.text
	.type	__hip_cuid_b106374584707f14,@object ; @__hip_cuid_b106374584707f14
	.section	.bss,"aw",@nobits
	.globl	__hip_cuid_b106374584707f14
__hip_cuid_b106374584707f14:
	.byte	0                               ; 0x0
	.size	__hip_cuid_b106374584707f14, 1

	.ident	"AMD clang version 22.0.0git (https://github.com/RadeonOpenCompute/llvm-project roc-7.2.4 26084 f58b06dce1f9c15707c5f808fd002e18c2accf7e)"
	.section	".note.GNU-stack","",@progbits
	.addrsig
	.addrsig_sym __hip_cuid_b106374584707f14
	.amdgpu_metadata
---
amdhsa.kernels:
  - .args:
      - .address_space:  global
        .offset:         0
        .size:           8
        .value_kind:     global_buffer
      - .address_space:  global
        .offset:         8
        .size:           8
        .value_kind:     global_buffer
      - .address_space:  global
        .offset:         16
        .size:           8
        .value_kind:     global_buffer
      - .offset:         24
        .size:           8
        .value_kind:     by_value
      - .offset:         32
        .size:           4
        .value_kind:     hidden_block_count_x
      - .offset:         36
        .size:           4
        .value_kind:     hidden_block_count_y
      - .offset:         40
        .size:           4
        .value_kind:     hidden_block_count_z
      - .offset:         44
        .size:           2
        .value_kind:     hidden_group_size_x
      - .offset:         46
        .size:           2
        .value_kind:     hidden_group_size_y
      - .offset:         48
        .size:           2
        .value_kind:     hidden_group_size_z
      - .offset:         50
        .size:           2
        .value_kind:     hidden_remainder_x
      - .offset:         52
        .size:           2
        .value_kind:     hidden_remainder_y
      - .offset:         54
        .size:           2
        .value_kind:     hidden_remainder_z
      - .offset:         72
        .size:           8
        .value_kind:     hidden_global_offset_x
      - .offset:         80
        .size:           8
        .value_kind:     hidden_global_offset_y
      - .offset:         88
        .size:           8
        .value_kind:     hidden_global_offset_z
      - .offset:         96
        .size:           2
        .value_kind:     hidden_grid_dims
    .group_segment_fixed_size: 0
    .kernarg_segment_align: 8
    .kernarg_segment_size: 288
    .language:       OpenCL C
    .language_version:
      - 2
      - 0
    .max_flat_workgroup_size: 1024
    .name:           _Z11test_globalPoPbPKjm
    .private_segment_fixed_size: 0
    .sgpr_count:     16
    .sgpr_spill_count: 0
    .symbol:         _Z11test_globalPoPbPKjm.kd
    .uniform_work_group_size: 1
    .uses_dynamic_stack: false
    .vgpr_count:     17
    .vgpr_spill_count: 0
    .wavefront_size: 32
    .workgroup_processor_mode: 1
  - .args:
      - .address_space:  global
        .offset:         0
        .size:           8
        .value_kind:     global_buffer
      - .address_space:  global
        .offset:         8
        .size:           8
        .value_kind:     global_buffer
      - .offset:         16
        .size:           8
        .value_kind:     by_value
      - .offset:         24
        .size:           4
        .value_kind:     hidden_block_count_x
      - .offset:         28
        .size:           4
        .value_kind:     hidden_block_count_y
      - .offset:         32
        .size:           4
        .value_kind:     hidden_block_count_z
      - .offset:         36
        .size:           2
        .value_kind:     hidden_group_size_x
      - .offset:         38
        .size:           2
        .value_kind:     hidden_group_size_y
      - .offset:         40
        .size:           2
        .value_kind:     hidden_group_size_z
      - .offset:         42
        .size:           2
        .value_kind:     hidden_remainder_x
      - .offset:         44
        .size:           2
        .value_kind:     hidden_remainder_y
      - .offset:         46
        .size:           2
        .value_kind:     hidden_remainder_z
      - .offset:         64
        .size:           8
        .value_kind:     hidden_global_offset_x
      - .offset:         72
        .size:           8
        .value_kind:     hidden_global_offset_y
      - .offset:         80
        .size:           8
        .value_kind:     hidden_global_offset_z
      - .offset:         88
        .size:           2
        .value_kind:     hidden_grid_dims
    .group_segment_fixed_size: 16
    .kernarg_segment_align: 8
    .kernarg_segment_size: 280
    .language:       OpenCL C
    .language_version:
      - 2
      - 0
    .max_flat_workgroup_size: 1024
    .name:           _Z11test_sharedPbPKjm
    .private_segment_fixed_size: 0
    .sgpr_count:     16
    .sgpr_spill_count: 0
    .symbol:         _Z11test_sharedPbPKjm.kd
    .uniform_work_group_size: 1
    .uses_dynamic_stack: false
    .vgpr_count:     14
    .vgpr_spill_count: 0
    .wavefront_size: 32
    .workgroup_processor_mode: 1
  - .args:
      - .address_space:  global
        .offset:         0
        .size:           8
        .value_kind:     global_buffer
      - .address_space:  global
        .offset:         8
        .size:           8
        .value_kind:     global_buffer
      - .address_space:  global
        .offset:         16
        .size:           8
        .value_kind:     global_buffer
      - .offset:         24
        .size:           8
        .value_kind:     by_value
      - .offset:         32
        .size:           4
        .value_kind:     hidden_block_count_x
      - .offset:         36
        .size:           4
        .value_kind:     hidden_block_count_y
      - .offset:         40
        .size:           4
        .value_kind:     hidden_block_count_z
      - .offset:         44
        .size:           2
        .value_kind:     hidden_group_size_x
      - .offset:         46
        .size:           2
        .value_kind:     hidden_group_size_y
      - .offset:         48
        .size:           2
        .value_kind:     hidden_group_size_z
      - .offset:         50
        .size:           2
        .value_kind:     hidden_remainder_x
      - .offset:         52
        .size:           2
        .value_kind:     hidden_remainder_y
      - .offset:         54
        .size:           2
        .value_kind:     hidden_remainder_z
      - .offset:         72
        .size:           8
        .value_kind:     hidden_global_offset_x
      - .offset:         80
        .size:           8
        .value_kind:     hidden_global_offset_y
      - .offset:         88
        .size:           8
        .value_kind:     hidden_global_offset_z
      - .offset:         96
        .size:           2
        .value_kind:     hidden_grid_dims
    .group_segment_fixed_size: 16
    .kernarg_segment_align: 8
    .kernarg_segment_size: 288
    .language:       OpenCL C
    .language_version:
      - 2
      - 0
    .max_flat_workgroup_size: 1024
    .name:           _Z9test_flatPoPbPKjm
    .private_segment_fixed_size: 0
    .sgpr_count:     32
    .sgpr_spill_count: 0
    .symbol:         _Z9test_flatPoPbPKjm.kd
    .uniform_work_group_size: 1
    .uses_dynamic_stack: false
    .vgpr_count:     15
    .vgpr_spill_count: 0
    .wavefront_size: 32
    .workgroup_processor_mode: 1
amdhsa.target:   amdgcn-amd-amdhsa--gfx1201
amdhsa.version:
  - 1
  - 2
...

	.end_amdgpu_metadata
